;; amdgpu-corpus repo=ROCm/rocFFT kind=compiled arch=gfx1201 opt=O3
	.text
	.amdgcn_target "amdgcn-amd-amdhsa--gfx1201"
	.amdhsa_code_object_version 6
	.protected	fft_rtc_fwd_len55_factors_5_11_wgs_253_tpt_11_half_op_CI_CI_unitstride_sbrr_dirReg ; -- Begin function fft_rtc_fwd_len55_factors_5_11_wgs_253_tpt_11_half_op_CI_CI_unitstride_sbrr_dirReg
	.globl	fft_rtc_fwd_len55_factors_5_11_wgs_253_tpt_11_half_op_CI_CI_unitstride_sbrr_dirReg
	.p2align	8
	.type	fft_rtc_fwd_len55_factors_5_11_wgs_253_tpt_11_half_op_CI_CI_unitstride_sbrr_dirReg,@function
fft_rtc_fwd_len55_factors_5_11_wgs_253_tpt_11_half_op_CI_CI_unitstride_sbrr_dirReg: ; @fft_rtc_fwd_len55_factors_5_11_wgs_253_tpt_11_half_op_CI_CI_unitstride_sbrr_dirReg
; %bb.0:
	s_load_b128 s[8:11], s[0:1], 0x0
	v_mul_u32_u24_e32 v1, 0x1746, v0
	s_clause 0x1
	s_load_b128 s[4:7], s[0:1], 0x58
	s_load_b128 s[12:15], s[0:1], 0x18
	v_mov_b32_e32 v8, 0
	v_mov_b32_e32 v6, 0
	;; [unrolled: 1-line block ×3, first 2 shown]
	v_lshrrev_b32_e32 v1, 16, v1
	s_delay_alu instid0(VALU_DEP_1) | instskip(SKIP_1) | instid1(VALU_DEP_4)
	v_mad_co_u64_u32 v[4:5], null, ttmp9, 23, v[1:2]
	v_mov_b32_e32 v5, v8
	v_dual_mov_b32 v1, v6 :: v_dual_mov_b32 v2, v7
	s_delay_alu instid0(VALU_DEP_2) | instskip(SKIP_2) | instid1(VALU_DEP_1)
	v_dual_mov_b32 v16, v5 :: v_dual_mov_b32 v15, v4
	s_wait_kmcnt 0x0
	v_cmp_lt_u64_e64 s2, s[10:11], 2
	s_and_b32 vcc_lo, exec_lo, s2
	s_cbranch_vccnz .LBB0_8
; %bb.1:
	s_load_b64 s[2:3], s[0:1], 0x10
	v_dual_mov_b32 v6, 0 :: v_dual_mov_b32 v11, v5
	v_dual_mov_b32 v7, 0 :: v_dual_mov_b32 v10, v4
	s_delay_alu instid0(VALU_DEP_2) | instskip(SKIP_2) | instid1(VALU_DEP_2)
	v_mov_b32_e32 v1, v6
	s_add_nc_u64 s[16:17], s[14:15], 8
	s_add_nc_u64 s[18:19], s[12:13], 8
	v_mov_b32_e32 v2, v7
	s_mov_b64 s[20:21], 1
	s_wait_kmcnt 0x0
	s_add_nc_u64 s[22:23], s[2:3], 8
	s_mov_b32 s3, 0
.LBB0_2:                                ; =>This Inner Loop Header: Depth=1
	s_load_b64 s[24:25], s[22:23], 0x0
                                        ; implicit-def: $vgpr15_vgpr16
	s_mov_b32 s2, exec_lo
	s_wait_kmcnt 0x0
	v_or_b32_e32 v9, s25, v11
	s_delay_alu instid0(VALU_DEP_1)
	v_cmpx_ne_u64_e32 0, v[8:9]
	s_wait_alu 0xfffe
	s_xor_b32 s26, exec_lo, s2
	s_cbranch_execz .LBB0_4
; %bb.3:                                ;   in Loop: Header=BB0_2 Depth=1
	s_cvt_f32_u32 s2, s24
	s_cvt_f32_u32 s27, s25
	s_sub_nc_u64 s[30:31], 0, s[24:25]
	s_wait_alu 0xfffe
	s_delay_alu instid0(SALU_CYCLE_1) | instskip(SKIP_1) | instid1(SALU_CYCLE_2)
	s_fmamk_f32 s2, s27, 0x4f800000, s2
	s_wait_alu 0xfffe
	v_s_rcp_f32 s2, s2
	s_delay_alu instid0(TRANS32_DEP_1) | instskip(SKIP_1) | instid1(SALU_CYCLE_2)
	s_mul_f32 s2, s2, 0x5f7ffffc
	s_wait_alu 0xfffe
	s_mul_f32 s27, s2, 0x2f800000
	s_wait_alu 0xfffe
	s_delay_alu instid0(SALU_CYCLE_2) | instskip(SKIP_1) | instid1(SALU_CYCLE_2)
	s_trunc_f32 s27, s27
	s_wait_alu 0xfffe
	s_fmamk_f32 s2, s27, 0xcf800000, s2
	s_cvt_u32_f32 s29, s27
	s_wait_alu 0xfffe
	s_delay_alu instid0(SALU_CYCLE_1) | instskip(SKIP_1) | instid1(SALU_CYCLE_2)
	s_cvt_u32_f32 s28, s2
	s_wait_alu 0xfffe
	s_mul_u64 s[34:35], s[30:31], s[28:29]
	s_wait_alu 0xfffe
	s_mul_hi_u32 s37, s28, s35
	s_mul_i32 s36, s28, s35
	s_mul_hi_u32 s2, s28, s34
	s_mul_i32 s33, s29, s34
	s_wait_alu 0xfffe
	s_add_nc_u64 s[36:37], s[2:3], s[36:37]
	s_mul_hi_u32 s27, s29, s34
	s_mul_hi_u32 s38, s29, s35
	s_add_co_u32 s2, s36, s33
	s_wait_alu 0xfffe
	s_add_co_ci_u32 s2, s37, s27
	s_mul_i32 s34, s29, s35
	s_add_co_ci_u32 s35, s38, 0
	s_wait_alu 0xfffe
	s_add_nc_u64 s[34:35], s[2:3], s[34:35]
	s_wait_alu 0xfffe
	v_add_co_u32 v3, s2, s28, s34
	s_delay_alu instid0(VALU_DEP_1) | instskip(SKIP_1) | instid1(VALU_DEP_1)
	s_cmp_lg_u32 s2, 0
	s_add_co_ci_u32 s29, s29, s35
	v_readfirstlane_b32 s28, v3
	s_wait_alu 0xfffe
	s_delay_alu instid0(VALU_DEP_1)
	s_mul_u64 s[30:31], s[30:31], s[28:29]
	s_wait_alu 0xfffe
	s_mul_hi_u32 s35, s28, s31
	s_mul_i32 s34, s28, s31
	s_mul_hi_u32 s2, s28, s30
	s_mul_i32 s33, s29, s30
	s_wait_alu 0xfffe
	s_add_nc_u64 s[34:35], s[2:3], s[34:35]
	s_mul_hi_u32 s27, s29, s30
	s_mul_hi_u32 s28, s29, s31
	s_wait_alu 0xfffe
	s_add_co_u32 s2, s34, s33
	s_add_co_ci_u32 s2, s35, s27
	s_mul_i32 s30, s29, s31
	s_add_co_ci_u32 s31, s28, 0
	s_wait_alu 0xfffe
	s_add_nc_u64 s[30:31], s[2:3], s[30:31]
	s_wait_alu 0xfffe
	v_add_co_u32 v3, s2, v3, s30
	s_delay_alu instid0(VALU_DEP_1) | instskip(SKIP_1) | instid1(VALU_DEP_1)
	s_cmp_lg_u32 s2, 0
	s_add_co_ci_u32 s2, s29, s31
	v_mul_hi_u32 v5, v10, v3
	s_wait_alu 0xfffe
	v_mad_co_u64_u32 v[12:13], null, v10, s2, 0
	v_mad_co_u64_u32 v[14:15], null, v11, v3, 0
	;; [unrolled: 1-line block ×3, first 2 shown]
	s_delay_alu instid0(VALU_DEP_3) | instskip(SKIP_1) | instid1(VALU_DEP_4)
	v_add_co_u32 v3, vcc_lo, v5, v12
	s_wait_alu 0xfffd
	v_add_co_ci_u32_e32 v5, vcc_lo, 0, v13, vcc_lo
	s_delay_alu instid0(VALU_DEP_2) | instskip(SKIP_1) | instid1(VALU_DEP_2)
	v_add_co_u32 v3, vcc_lo, v3, v14
	s_wait_alu 0xfffd
	v_add_co_ci_u32_e32 v3, vcc_lo, v5, v15, vcc_lo
	s_wait_alu 0xfffd
	v_add_co_ci_u32_e32 v5, vcc_lo, 0, v17, vcc_lo
	s_delay_alu instid0(VALU_DEP_2) | instskip(SKIP_1) | instid1(VALU_DEP_2)
	v_add_co_u32 v3, vcc_lo, v3, v16
	s_wait_alu 0xfffd
	v_add_co_ci_u32_e32 v5, vcc_lo, 0, v5, vcc_lo
	s_delay_alu instid0(VALU_DEP_2) | instskip(SKIP_1) | instid1(VALU_DEP_3)
	v_mul_lo_u32 v9, s25, v3
	v_mad_co_u64_u32 v[12:13], null, s24, v3, 0
	v_mul_lo_u32 v14, s24, v5
	s_delay_alu instid0(VALU_DEP_2) | instskip(NEXT) | instid1(VALU_DEP_2)
	v_sub_co_u32 v12, vcc_lo, v10, v12
	v_add3_u32 v9, v13, v14, v9
	s_delay_alu instid0(VALU_DEP_1) | instskip(SKIP_1) | instid1(VALU_DEP_1)
	v_sub_nc_u32_e32 v13, v11, v9
	s_wait_alu 0xfffd
	v_subrev_co_ci_u32_e64 v13, s2, s25, v13, vcc_lo
	v_add_co_u32 v14, s2, v3, 2
	s_wait_alu 0xf1ff
	v_add_co_ci_u32_e64 v15, s2, 0, v5, s2
	v_sub_co_u32 v16, s2, v12, s24
	v_sub_co_ci_u32_e32 v9, vcc_lo, v11, v9, vcc_lo
	s_wait_alu 0xf1ff
	v_subrev_co_ci_u32_e64 v13, s2, 0, v13, s2
	s_delay_alu instid0(VALU_DEP_3) | instskip(NEXT) | instid1(VALU_DEP_3)
	v_cmp_le_u32_e32 vcc_lo, s24, v16
	v_cmp_eq_u32_e64 s2, s25, v9
	s_wait_alu 0xfffd
	v_cndmask_b32_e64 v16, 0, -1, vcc_lo
	v_cmp_le_u32_e32 vcc_lo, s25, v13
	s_wait_alu 0xfffd
	v_cndmask_b32_e64 v17, 0, -1, vcc_lo
	v_cmp_le_u32_e32 vcc_lo, s24, v12
	;; [unrolled: 3-line block ×3, first 2 shown]
	s_wait_alu 0xfffd
	v_cndmask_b32_e64 v18, 0, -1, vcc_lo
	v_cmp_eq_u32_e32 vcc_lo, s25, v13
	s_wait_alu 0xf1ff
	s_delay_alu instid0(VALU_DEP_2)
	v_cndmask_b32_e64 v9, v18, v12, s2
	s_wait_alu 0xfffd
	v_cndmask_b32_e32 v13, v17, v16, vcc_lo
	v_add_co_u32 v16, vcc_lo, v3, 1
	s_wait_alu 0xfffd
	v_add_co_ci_u32_e32 v17, vcc_lo, 0, v5, vcc_lo
	s_delay_alu instid0(VALU_DEP_3) | instskip(SKIP_1) | instid1(VALU_DEP_2)
	v_cmp_ne_u32_e32 vcc_lo, 0, v13
	s_wait_alu 0xfffd
	v_dual_cndmask_b32 v12, v17, v15 :: v_dual_cndmask_b32 v13, v16, v14
	v_cmp_ne_u32_e32 vcc_lo, 0, v9
	s_wait_alu 0xfffd
	s_delay_alu instid0(VALU_DEP_2)
	v_dual_cndmask_b32 v16, v5, v12 :: v_dual_cndmask_b32 v15, v3, v13
.LBB0_4:                                ;   in Loop: Header=BB0_2 Depth=1
	s_wait_alu 0xfffe
	s_and_not1_saveexec_b32 s2, s26
	s_cbranch_execz .LBB0_6
; %bb.5:                                ;   in Loop: Header=BB0_2 Depth=1
	v_cvt_f32_u32_e32 v3, s24
	s_sub_co_i32 s26, 0, s24
	v_mov_b32_e32 v16, v8
	s_delay_alu instid0(VALU_DEP_2) | instskip(NEXT) | instid1(TRANS32_DEP_1)
	v_rcp_iflag_f32_e32 v3, v3
	v_mul_f32_e32 v3, 0x4f7ffffe, v3
	s_delay_alu instid0(VALU_DEP_1) | instskip(SKIP_1) | instid1(VALU_DEP_1)
	v_cvt_u32_f32_e32 v3, v3
	s_wait_alu 0xfffe
	v_mul_lo_u32 v5, s26, v3
	s_delay_alu instid0(VALU_DEP_1) | instskip(NEXT) | instid1(VALU_DEP_1)
	v_mul_hi_u32 v5, v3, v5
	v_add_nc_u32_e32 v3, v3, v5
	s_delay_alu instid0(VALU_DEP_1) | instskip(NEXT) | instid1(VALU_DEP_1)
	v_mul_hi_u32 v3, v10, v3
	v_mul_lo_u32 v5, v3, s24
	v_add_nc_u32_e32 v9, 1, v3
	s_delay_alu instid0(VALU_DEP_2) | instskip(NEXT) | instid1(VALU_DEP_1)
	v_sub_nc_u32_e32 v5, v10, v5
	v_subrev_nc_u32_e32 v12, s24, v5
	v_cmp_le_u32_e32 vcc_lo, s24, v5
	s_wait_alu 0xfffd
	s_delay_alu instid0(VALU_DEP_2) | instskip(SKIP_1) | instid1(VALU_DEP_2)
	v_cndmask_b32_e32 v5, v5, v12, vcc_lo
	v_cndmask_b32_e32 v3, v3, v9, vcc_lo
	v_cmp_le_u32_e32 vcc_lo, s24, v5
	s_delay_alu instid0(VALU_DEP_2) | instskip(SKIP_1) | instid1(VALU_DEP_1)
	v_add_nc_u32_e32 v9, 1, v3
	s_wait_alu 0xfffd
	v_cndmask_b32_e32 v15, v3, v9, vcc_lo
.LBB0_6:                                ;   in Loop: Header=BB0_2 Depth=1
	s_wait_alu 0xfffe
	s_or_b32 exec_lo, exec_lo, s2
	v_mul_lo_u32 v3, v16, s24
	s_delay_alu instid0(VALU_DEP_2)
	v_mul_lo_u32 v5, v15, s25
	s_load_b64 s[26:27], s[18:19], 0x0
	v_mad_co_u64_u32 v[12:13], null, v15, s24, 0
	s_load_b64 s[24:25], s[16:17], 0x0
	s_add_nc_u64 s[20:21], s[20:21], 1
	s_add_nc_u64 s[16:17], s[16:17], 8
	s_wait_alu 0xfffe
	v_cmp_ge_u64_e64 s2, s[20:21], s[10:11]
	s_add_nc_u64 s[18:19], s[18:19], 8
	s_add_nc_u64 s[22:23], s[22:23], 8
	v_add3_u32 v3, v13, v5, v3
	v_sub_co_u32 v5, vcc_lo, v10, v12
	s_wait_alu 0xfffd
	s_delay_alu instid0(VALU_DEP_2) | instskip(SKIP_2) | instid1(VALU_DEP_1)
	v_sub_co_ci_u32_e32 v3, vcc_lo, v11, v3, vcc_lo
	s_and_b32 vcc_lo, exec_lo, s2
	s_wait_kmcnt 0x0
	v_mul_lo_u32 v9, s26, v3
	v_mul_lo_u32 v10, s27, v5
	v_mad_co_u64_u32 v[6:7], null, s26, v5, v[6:7]
	v_mul_lo_u32 v3, s24, v3
	v_mul_lo_u32 v11, s25, v5
	v_mad_co_u64_u32 v[1:2], null, s24, v5, v[1:2]
	s_delay_alu instid0(VALU_DEP_4) | instskip(NEXT) | instid1(VALU_DEP_2)
	v_add3_u32 v7, v10, v7, v9
	v_add3_u32 v2, v11, v2, v3
	s_wait_alu 0xfffe
	s_cbranch_vccnz .LBB0_8
; %bb.7:                                ;   in Loop: Header=BB0_2 Depth=1
	v_dual_mov_b32 v10, v15 :: v_dual_mov_b32 v11, v16
	s_branch .LBB0_2
.LBB0_8:
	s_load_b64 s[0:1], s[0:1], 0x28
	v_mul_hi_u32 v12, 0x1745d175, v0
	s_lshl_b64 s[10:11], s[10:11], 3
                                        ; implicit-def: $vgpr3
	s_wait_kmcnt 0x0
	v_cmp_gt_u64_e32 vcc_lo, s[0:1], v[15:16]
	v_cmp_le_u64_e64 s0, s[0:1], v[15:16]
	s_delay_alu instid0(VALU_DEP_1)
	s_and_saveexec_b32 s1, s0
	s_wait_alu 0xfffe
	s_xor_b32 s0, exec_lo, s1
; %bb.9:
	v_mul_u32_u24_e32 v3, 11, v12
                                        ; implicit-def: $vgpr12
                                        ; implicit-def: $vgpr6_vgpr7
	s_delay_alu instid0(VALU_DEP_1)
	v_sub_nc_u32_e32 v3, v0, v3
                                        ; implicit-def: $vgpr0
; %bb.10:
	s_wait_alu 0xfffe
	s_or_saveexec_b32 s1, s0
	s_add_nc_u64 s[2:3], s[14:15], s[10:11]
                                        ; implicit-def: $vgpr8
                                        ; implicit-def: $vgpr10
                                        ; implicit-def: $vgpr11
                                        ; implicit-def: $vgpr9
                                        ; implicit-def: $vgpr5
	s_wait_alu 0xfffe
	s_xor_b32 exec_lo, exec_lo, s1
	s_cbranch_execz .LBB0_12
; %bb.11:
	s_add_nc_u64 s[10:11], s[12:13], s[10:11]
	s_load_b64 s[10:11], s[10:11], 0x0
	s_wait_kmcnt 0x0
	v_mul_lo_u32 v3, s11, v15
	v_mul_lo_u32 v5, s10, v16
	v_mad_co_u64_u32 v[8:9], null, s10, v15, 0
	s_delay_alu instid0(VALU_DEP_1) | instskip(SKIP_2) | instid1(VALU_DEP_3)
	v_add3_u32 v9, v9, v5, v3
	v_mul_u32_u24_e32 v3, 11, v12
	v_lshlrev_b64_e32 v[5:6], 2, v[6:7]
	v_lshlrev_b64_e32 v[8:9], 2, v[8:9]
	s_delay_alu instid0(VALU_DEP_3) | instskip(NEXT) | instid1(VALU_DEP_2)
	v_sub_nc_u32_e32 v3, v0, v3
	v_add_co_u32 v0, s0, s4, v8
	s_wait_alu 0xf1ff
	s_delay_alu instid0(VALU_DEP_3) | instskip(NEXT) | instid1(VALU_DEP_3)
	v_add_co_ci_u32_e64 v7, s0, s5, v9, s0
	v_lshlrev_b32_e32 v8, 2, v3
	s_delay_alu instid0(VALU_DEP_3) | instskip(SKIP_1) | instid1(VALU_DEP_3)
	v_add_co_u32 v0, s0, v0, v5
	s_wait_alu 0xf1ff
	v_add_co_ci_u32_e64 v6, s0, v7, v6, s0
	s_delay_alu instid0(VALU_DEP_2) | instskip(SKIP_1) | instid1(VALU_DEP_2)
	v_add_co_u32 v5, s0, v0, v8
	s_wait_alu 0xf1ff
	v_add_co_ci_u32_e64 v6, s0, 0, v6, s0
	s_clause 0x4
	global_load_b32 v8, v[5:6], off
	global_load_b32 v10, v[5:6], off offset:44
	global_load_b32 v11, v[5:6], off offset:88
	;; [unrolled: 1-line block ×4, first 2 shown]
.LBB0_12:
	s_or_b32 exec_lo, exec_lo, s1
	v_mul_hi_u32 v0, 0xb21642c9, v4
	s_wait_loadcnt 0x3
	v_pk_add_f16 v6, v8, v10
	s_wait_loadcnt 0x0
	v_pk_add_f16 v7, v10, v5 neg_lo:[0,1] neg_hi:[0,1]
	v_pk_add_f16 v13, v10, v5
	v_pk_add_f16 v14, v11, v10 neg_lo:[0,1] neg_hi:[0,1]
	v_pk_add_f16 v17, v9, v5 neg_lo:[0,1] neg_hi:[0,1]
	v_pk_add_f16 v18, v11, v9
	v_pk_add_f16 v6, v6, v11
	v_lshrrev_b32_e32 v0, 4, v0
	v_pk_add_f16 v12, v11, v9 neg_lo:[0,1] neg_hi:[0,1]
	v_pk_add_f16 v10, v10, v11 neg_lo:[0,1] neg_hi:[0,1]
	v_pk_fma_f16 v11, v13, 0.5, v8 op_sel_hi:[1,0,1] neg_lo:[1,0,0] neg_hi:[1,0,0]
	v_pk_add_f16 v13, v14, v17
	v_mul_lo_u32 v0, v0, 23
	v_pk_fma_f16 v8, v18, 0.5, v8 op_sel_hi:[1,0,1] neg_lo:[1,0,0] neg_hi:[1,0,0]
	v_pk_mul_f16 v14, 0x3b9c, v7 op_sel_hi:[0,1]
	v_pk_add_f16 v6, v6, v9
	v_pk_add_f16 v19, v5, v9 neg_lo:[0,1] neg_hi:[0,1]
	v_pk_mul_f16 v18, 0x38b4, v12 op_sel_hi:[0,1]
	v_pk_fma_f16 v9, 0x3b9c, v12, v11 op_sel:[0,0,1] op_sel_hi:[0,1,0] neg_lo:[0,1,0] neg_hi:[0,1,0]
	s_load_b64 s[2:3], s[2:3], 0x0
	v_sub_nc_u32_e32 v0, v4, v0
	v_pk_fma_f16 v4, 0x3b9c, v12, v11 op_sel:[0,0,1] op_sel_hi:[0,1,0]
	v_pk_add_f16 v11, v8, v14 op_sel:[0,1] op_sel_hi:[1,0]
	v_pk_add_f16 v17, v6, v5
	v_pk_add_f16 v6, v8, v14 op_sel:[0,1] op_sel_hi:[1,0] neg_lo:[0,1] neg_hi:[0,1]
	v_pk_fma_f16 v5, 0x38b4, v7, v9 op_sel_hi:[0,1,1]
	v_pk_mul_f16 v8, 0x34f2, v13 op_sel_hi:[0,1]
	v_pk_fma_f16 v7, 0x38b4, v7, v4 op_sel_hi:[0,1,1] neg_lo:[0,1,0] neg_hi:[0,1,0]
	v_pk_add_f16 v9, v10, v19
	v_pk_add_f16 v10, v18, v11 op_sel:[1,0] op_sel_hi:[0,1]
	v_pk_add_f16 v6, v6, v18 op_sel:[0,1] op_sel_hi:[1,0] neg_lo:[0,1] neg_hi:[0,1]
	v_mul_u32_u24_e32 v0, 55, v0
	v_pk_add_f16 v19, v8, v7 op_sel:[1,0] op_sel_hi:[0,1]
	v_mad_u32_u24 v4, v3, 20, 0
	v_pk_add_f16 v18, v8, v5 op_sel:[1,0] op_sel_hi:[0,1]
	v_bfi_b32 v7, 0xffff, v6, v10
	v_pk_fma_f16 v5, 0x34f2, v9, v10 op_sel_hi:[0,1,1]
	v_pk_fma_f16 v11, 0x34f2, v9, v6 op_sel_hi:[0,1,1]
	v_lshl_add_u32 v12, v0, 2, v4
	v_lshrrev_b32_e32 v6, 16, v18
	v_pk_fma_f16 v8, 0x34f2, v9, v7 op_sel_hi:[0,1,1]
	v_lshrrev_b32_e32 v7, 16, v19
	v_bfi_b32 v13, 0xffff, v5, v11
	v_lshrrev_b32_e32 v20, 16, v11
	v_alignbit_b32 v10, v18, v19, 16
	v_lshrrev_b32_e32 v23, 16, v8
	v_alignbit_b32 v14, v19, v18, 16
	s_mov_b32 s1, exec_lo
	ds_store_2addr_b32 v12, v17, v13 offset1:1
	ds_store_2addr_b32 v12, v14, v10 offset0:2 offset1:3
	ds_store_b32 v12, v8 offset:16
	global_wb scope:SCOPE_SE
	s_wait_dscnt 0x0
	s_wait_kmcnt 0x0
	s_barrier_signal -1
	s_barrier_wait -1
	global_inv scope:SCOPE_SE
                                        ; implicit-def: $vgpr25
                                        ; implicit-def: $vgpr14
                                        ; implicit-def: $vgpr24
                                        ; implicit-def: $vgpr22
                                        ; implicit-def: $vgpr10
                                        ; implicit-def: $vgpr21
                                        ; implicit-def: $vgpr27
                                        ; implicit-def: $vgpr12
                                        ; implicit-def: $vgpr26
	v_cmpx_gt_u32_e32 5, v3
	s_cbranch_execz .LBB0_14
; %bb.13:
	v_lshlrev_b32_e32 v5, 4, v3
	v_lshlrev_b32_e32 v0, 2, v0
	v_lshlrev_b32_e32 v11, 2, v3
	s_delay_alu instid0(VALU_DEP_3) | instskip(NEXT) | instid1(VALU_DEP_1)
	v_sub_nc_u32_e32 v4, v4, v5
	v_add_nc_u32_e32 v4, v4, v0
	s_delay_alu instid0(VALU_DEP_3)
	v_add3_u32 v0, 0, v0, v11
	ds_load_2addr_b32 v[9:10], v4 offset0:35 offset1:40
	ds_load_2addr_b32 v[13:14], v4 offset0:45 offset1:50
	;; [unrolled: 1-line block ×5, first 2 shown]
	ds_load_b32 v17, v0
	ds_load_u16 v21, v4 offset:142
	s_wait_dscnt 0x6
	v_lshrrev_b32_e32 v22, 16, v10
	s_wait_dscnt 0x5
	v_lshrrev_b32_e32 v24, 16, v13
	v_lshrrev_b32_e32 v25, 16, v14
	s_wait_dscnt 0x4
	v_lshrrev_b32_e32 v20, 16, v5
	;; [unrolled: 3-line block ×4, first 2 shown]
	v_lshrrev_b32_e32 v27, 16, v12
.LBB0_14:
	s_wait_alu 0xfffe
	s_or_b32 exec_lo, exec_lo, s1
	v_cmp_gt_u32_e64 s0, 5, v3
	s_delay_alu instid0(VALU_DEP_1)
	s_and_b32 s0, vcc_lo, s0
	s_wait_alu 0xfffe
	s_and_saveexec_b32 s1, s0
	s_cbranch_execz .LBB0_16
; %bb.15:
	v_and_b32_e32 v0, 0xff, v3
	v_mul_lo_u32 v4, s2, v16
	s_wait_dscnt 0x1
	v_lshrrev_b32_e32 v29, 16, v17
	s_delay_alu instid0(VALU_DEP_3) | instskip(NEXT) | instid1(VALU_DEP_1)
	v_mul_lo_u16 v0, 0xcd, v0
	v_lshrrev_b16 v0, 10, v0
	s_delay_alu instid0(VALU_DEP_1) | instskip(NEXT) | instid1(VALU_DEP_1)
	v_mul_lo_u16 v0, v0, 5
	v_sub_nc_u16 v0, v3, v0
	s_delay_alu instid0(VALU_DEP_1) | instskip(NEXT) | instid1(VALU_DEP_1)
	v_mul_lo_u16 v0, v0, 10
	v_and_b32_e32 v0, 0xfe, v0
	s_delay_alu instid0(VALU_DEP_1)
	v_lshlrev_b32_e32 v0, 2, v0
	s_clause 0x2
	global_load_b128 v[30:33], v0, s[8:9]
	global_load_b64 v[38:39], v0, s[8:9] offset:32
	global_load_b128 v[34:37], v0, s[8:9] offset:16
	v_mul_lo_u32 v0, s3, v15
	v_mad_co_u64_u32 v[15:16], null, s2, v15, 0
	s_delay_alu instid0(VALU_DEP_1) | instskip(SKIP_2) | instid1(VALU_DEP_3)
	v_add3_u32 v16, v16, v4, v0
	v_mov_b32_e32 v4, 0
	v_lshlrev_b64_e32 v[0:1], 2, v[1:2]
	v_lshlrev_b64_e32 v[15:16], 2, v[15:16]
	s_delay_alu instid0(VALU_DEP_3) | instskip(NEXT) | instid1(VALU_DEP_2)
	v_lshlrev_b64_e32 v[2:3], 2, v[3:4]
	v_add_co_u32 v15, vcc_lo, s6, v15
	s_wait_alu 0xfffd
	s_delay_alu instid0(VALU_DEP_3) | instskip(NEXT) | instid1(VALU_DEP_2)
	v_add_co_ci_u32_e32 v16, vcc_lo, s7, v16, vcc_lo
	v_add_co_u32 v0, vcc_lo, v15, v0
	s_wait_alu 0xfffd
	s_delay_alu instid0(VALU_DEP_2) | instskip(NEXT) | instid1(VALU_DEP_2)
	v_add_co_ci_u32_e32 v1, vcc_lo, v16, v1, vcc_lo
	v_add_co_u32 v0, vcc_lo, v0, v2
	s_wait_alu 0xfffd
	s_delay_alu instid0(VALU_DEP_2)
	v_add_co_ci_u32_e32 v1, vcc_lo, v1, v3, vcc_lo
	s_wait_loadcnt 0x2
	v_lshrrev_b32_e32 v3, 16, v30
	v_lshrrev_b32_e32 v15, 16, v31
	;; [unrolled: 1-line block ×4, first 2 shown]
	s_wait_loadcnt 0x1
	v_lshrrev_b32_e32 v4, 16, v38
	v_lshrrev_b32_e32 v2, 16, v39
	s_wait_loadcnt 0x0
	v_lshrrev_b32_e32 v40, 16, v34
	v_lshrrev_b32_e32 v41, 16, v35
	;; [unrolled: 1-line block ×4, first 2 shown]
	v_mul_f16_e32 v44, v20, v3
	v_mul_f16_e32 v45, v25, v2
	;; [unrolled: 1-line block ×11, first 2 shown]
	s_wait_dscnt 0x0
	v_mul_f16_e32 v53, v21, v42
	v_mul_f16_e32 v54, v26, v40
	;; [unrolled: 1-line block ×9, first 2 shown]
	v_fma_f16 v41, v5, v30, -v44
	v_fma_f16 v3, v14, v39, -v45
	v_fmac_f16_e32 v2, v25, v39
	v_fmac_f16_e32 v46, v20, v30
	v_fma_f16 v14, v6, v31, -v47
	v_fma_f16 v5, v13, v38, -v48
	v_fmac_f16_e32 v4, v24, v38
	v_fmac_f16_e32 v49, v19, v31
	v_fma_f16 v13, v7, v32, -v50
	v_fma_f16 v6, v10, v37, -v51
	;; [unrolled: 1-line block ×6, first 2 shown]
	v_fmac_f16_e32 v15, v22, v37
	v_fmac_f16_e32 v43, v18, v32
	;; [unrolled: 1-line block ×6, first 2 shown]
	v_sub_f16_e32 v11, v41, v3
	v_sub_f16_e32 v18, v14, v5
	;; [unrolled: 1-line block ×7, first 2 shown]
	v_add_f16_e32 v32, v17, v41
	v_add_f16_e32 v33, v29, v46
	;; [unrolled: 1-line block ×9, first 2 shown]
	v_mul_f16_e32 v41, 0xb482, v11
	v_mul_f16_e32 v44, 0x3853, v18
	;; [unrolled: 1-line block ×35, first 2 shown]
	v_add_f16_e32 v14, v32, v14
	v_add_f16_e32 v32, v33, v49
	v_sub_f16_e32 v34, v43, v15
	v_add_f16_e32 v35, v13, v6
	v_sub_f16_e32 v36, v42, v16
	v_sub_f16_e32 v38, v40, v28
	v_fmamk_f16 v82, v12, 0xbbad, v41
	v_fmamk_f16 v83, v19, 0x3abb, v44
	v_fmamk_f16 v84, v21, 0xb93d, v45
	v_fmamk_f16 v85, v23, 0x36a6, v46
	v_fmamk_f16 v86, v25, 0xb08e, v47
	v_fma_f16 v87, v26, 0xbbad, -v48
	v_fma_f16 v88, v30, 0x3abb, -v50
	v_fmamk_f16 v89, v12, 0xb93d, v51
	v_fmamk_f16 v90, v19, 0xb08e, v52
	v_fmamk_f16 v91, v21, 0x3abb, v53
	v_fmamk_f16 v92, v23, 0xbbad, v54
	v_fmamk_f16 v93, v25, 0x36a6, v55
	v_fma_f16 v94, v26, 0xb93d, -v56
	v_fma_f16 v95, v30, 0xb08e, -v57
	v_fmamk_f16 v96, v12, 0xb08e, v58
	v_fmamk_f16 v97, v19, 0xbbad, v59
	v_fmamk_f16 v98, v21, 0x36a6, v60
	v_fmamk_f16 v99, v23, 0x3abb, v61
	v_fmamk_f16 v100, v25, 0xb93d, v62
	v_fma_f16 v101, v26, 0xb08e, -v63
	v_fma_f16 v102, v30, 0xbbad, -v64
	v_fmamk_f16 v103, v12, 0x36a6, v65
	v_fmamk_f16 v104, v19, 0xb93d, v66
	;; [unrolled: 1-line block ×5, first 2 shown]
	v_fma_f16 v108, v26, 0x36a6, -v70
	v_fmamk_f16 v109, v12, 0x3abb, v11
	v_fma_f16 v41, v12, 0xbbad, -v41
	v_fma_f16 v51, v12, 0xb93d, -v51
	v_fma_f16 v58, v12, 0xb08e, -v58
	v_fma_f16 v65, v12, 0x36a6, -v65
	v_fma_f16 v11, v12, 0x3abb, -v11
	v_fmamk_f16 v12, v19, 0x36a6, v18
	v_fma_f16 v44, v19, 0x3abb, -v44
	v_fma_f16 v52, v19, 0xb08e, -v52
	v_fma_f16 v59, v19, 0xbbad, -v59
	v_fma_f16 v66, v19, 0xb93d, -v66
	;; [unrolled: 6-line block ×5, first 2 shown]
	v_fma_f16 v24, v25, 0xbbad, -v24
	v_fma_f16 v25, v26, 0x3abb, -v27
	v_fmac_f16_e32 v48, 0xbbad, v26
	v_fmac_f16_e32 v56, 0xb93d, v26
	;; [unrolled: 1-line block ×5, first 2 shown]
	v_fma_f16 v26, v30, 0xb93d, -v71
	v_fmac_f16_e32 v50, 0x3abb, v30
	v_fmac_f16_e32 v57, 0xb08e, v30
	;; [unrolled: 1-line block ×4, first 2 shown]
	v_fma_f16 v110, v30, 0x36a6, -v31
	v_fmac_f16_e32 v31, 0x36a6, v30
	v_add_f16_e32 v30, v32, v43
	v_add_f16_e32 v13, v14, v13
	;; [unrolled: 1-line block ×4, first 2 shown]
	v_mul_f16_e32 v33, 0xba0c, v34
	v_mul_f16_e32 v49, 0xb853, v34
	v_mul_f16_e32 v72, 0x3b47, v34
	v_mul_f16_e32 v73, 0x3482, v34
	v_mul_f16_e32 v34, 0xbbeb, v34
	v_mul_f16_e32 v74, 0x3b47, v36
	v_mul_f16_e32 v75, 0xb482, v36
	v_mul_f16_e32 v76, 0xb853, v36
	v_mul_f16_e32 v77, 0x3beb, v36
	v_mul_f16_e32 v36, 0xba0c, v36
	v_mul_f16_e32 v78, 0xbbeb, v38
	v_mul_f16_e32 v79, 0x3b47, v38
	v_mul_f16_e32 v80, 0xba0c, v38
	v_mul_f16_e32 v81, 0x3853, v38
	v_mul_f16_e32 v38, 0xb482, v38
	v_add_f16_e32 v8, v13, v8
	v_add_f16_e32 v13, v30, v42
	v_fma_f16 v14, v35, 0xb93d, -v33
	v_fmac_f16_e32 v33, 0xb93d, v35
	v_fma_f16 v32, v35, 0x3abb, -v49
	v_fmac_f16_e32 v49, 0x3abb, v35
	;; [unrolled: 2-line block ×15, first 2 shown]
	v_add_f16_e32 v30, v29, v82
	v_add_f16_e32 v39, v29, v89
	v_add_f16_e32 v42, v29, v96
	v_add_f16_e32 v82, v29, v103
	v_add_f16_e32 v89, v29, v109
	v_add_f16_e32 v41, v29, v41
	v_add_f16_e32 v51, v29, v51
	v_add_f16_e32 v58, v29, v58
	v_add_f16_e32 v65, v29, v65
	v_add_f16_e32 v11, v29, v11
	v_add_f16_e32 v29, v17, v87
	v_add_f16_e32 v87, v17, v94
	v_add_f16_e32 v94, v17, v101
	v_add_f16_e32 v96, v17, v108
	v_add_f16_e32 v8, v8, v9
	v_add_f16_e32 v9, v13, v40
	v_add_f16_e32 v25, v17, v25
	v_add_f16_e32 v48, v17, v48
	v_add_f16_e32 v56, v17, v56
	v_add_f16_e32 v63, v17, v63
	v_add_f16_e32 v70, v17, v70
	v_add_f16_e32 v17, v17, v27
	v_add_f16_e32 v27, v30, v83
	v_add_f16_e32 v29, v29, v88
	v_add_f16_e32 v30, v39, v90
	v_add_f16_e32 v39, v87, v95
	v_add_f16_e32 v42, v42, v97
	v_add_f16_e32 v83, v94, v102
	v_add_f16_e32 v82, v82, v104
	v_add_f16_e32 v26, v96, v26
	v_add_f16_e32 v8, v8, v10
	v_add_f16_e32 v9, v9, v28
	v_add_f16_e32 v12, v89, v12
	v_add_f16_e32 v25, v25, v110
	v_add_f16_e32 v13, v41, v44
	v_add_f16_e32 v40, v48, v50
	v_add_f16_e32 v41, v51, v52
	v_add_f16_e32 v44, v56, v57
	v_add_f16_e32 v48, v58, v59
	v_add_f16_e32 v50, v63, v64
	v_add_f16_e32 v51, v65, v66
	v_add_f16_e32 v52, v70, v71
	v_add_f16_e32 v11, v11, v18
	v_add_f16_e32 v17, v17, v31
	v_add_f16_e32 v18, v27, v84
	v_add_f16_e32 v14, v29, v14
	v_add_f16_e32 v27, v30, v91
	v_add_f16_e32 v29, v39, v32
	v_add_f16_e32 v30, v42, v98
	v_add_f16_e32 v31, v83, v43
	v_add_f16_e32 v32, v82, v105
	v_add_f16_e32 v26, v26, v111
	v_add_f16_e32 v7, v7, v8
	v_add_f16_e32 v8, v16, v9
	v_add_f16_e32 v12, v12, v19
	v_add_f16_e32 v19, v25, v112
	v_add_f16_e32 v10, v13, v45
	v_add_f16_e32 v13, v40, v33
	v_add_f16_e32 v25, v41, v53
	v_add_f16_e32 v28, v44, v49
	v_add_f16_e32 v33, v48, v60
	v_add_f16_e32 v39, v50, v72
	v_add_f16_e32 v40, v51, v67
	v_add_f16_e32 v41, v52, v73
	v_add_f16_e32 v11, v11, v20
	v_add_f16_e32 v17, v17, v34
	v_add_f16_e32 v20, v27, v92
	v_add_f16_e32 v27, v29, v113
	v_add_f16_e32 v29, v30, v99
	v_add_f16_e32 v30, v31, v114
	v_add_f16_e32 v31, v32, v106
	v_add_f16_e32 v26, v26, v115
	v_add_f16_e32 v6, v6, v7
	v_add_f16_e32 v7, v15, v8
	v_add_f16_e32 v12, v12, v21
	v_add_f16_e32 v19, v19, v116
	v_add_f16_e32 v18, v18, v85
	v_add_f16_e32 v14, v14, v35
	v_add_f16_e32 v9, v10, v46
	v_add_f16_e32 v10, v13, v74
	v_add_f16_e32 v13, v25, v54
	v_add_f16_e32 v16, v28, v75
	v_add_f16_e32 v21, v33, v61
	v_add_f16_e32 v25, v39, v76
	v_add_f16_e32 v28, v40, v68
	v_add_f16_e32 v32, v41, v77
	v_add_f16_e32 v11, v11, v22
	v_add_f16_e32 v17, v17, v36
	v_add_f16_e32 v22, v27, v117
	v_add_f16_e32 v27, v29, v100
	v_add_f16_e32 v29, v30, v118
	v_add_f16_e32 v30, v31, v107
	v_add_f16_e32 v26, v26, v119
	v_add_f16_e32 v5, v5, v6
	v_add_f16_e32 v4, v4, v7
	v_add_f16_e32 v12, v12, v23
	v_add_f16_e32 v19, v19, v120
	v_add_f16_e32 v20, v20, v93
	v_add_f16_e32 v18, v18, v86
	v_add_f16_e32 v14, v14, v37
	v_add_f16_e32 v8, v9, v47
	v_add_f16_e32 v9, v10, v78
	v_add_f16_e32 v10, v13, v55
	v_add_f16_e32 v13, v16, v79
	v_add_f16_e32 v15, v21, v62
	v_add_f16_e32 v16, v25, v80
	v_add_f16_e32 v21, v28, v69
	v_add_f16_e32 v23, v32, v81
	v_add_f16_e32 v11, v11, v24
	v_add_f16_e32 v17, v17, v38
	v_pack_b32_f16 v7, v26, v30
	v_add_f16_e32 v3, v3, v5
	v_add_f16_e32 v2, v2, v4
	v_pack_b32_f16 v6, v19, v12
	v_pack_b32_f16 v12, v29, v27
	;; [unrolled: 1-line block ×10, first 2 shown]
	s_clause 0xa
	global_store_b32 v[0:1], v7, off offset:40
	global_store_b32 v[0:1], v12, off offset:60
	;; [unrolled: 1-line block ×7, first 2 shown]
	global_store_b32 v[0:1], v2, off
	global_store_b32 v[0:1], v5, off offset:160
	global_store_b32 v[0:1], v9, off offset:180
	;; [unrolled: 1-line block ×3, first 2 shown]
.LBB0_16:
	s_nop 0
	s_sendmsg sendmsg(MSG_DEALLOC_VGPRS)
	s_endpgm
	.section	.rodata,"a",@progbits
	.p2align	6, 0x0
	.amdhsa_kernel fft_rtc_fwd_len55_factors_5_11_wgs_253_tpt_11_half_op_CI_CI_unitstride_sbrr_dirReg
		.amdhsa_group_segment_fixed_size 0
		.amdhsa_private_segment_fixed_size 0
		.amdhsa_kernarg_size 104
		.amdhsa_user_sgpr_count 2
		.amdhsa_user_sgpr_dispatch_ptr 0
		.amdhsa_user_sgpr_queue_ptr 0
		.amdhsa_user_sgpr_kernarg_segment_ptr 1
		.amdhsa_user_sgpr_dispatch_id 0
		.amdhsa_user_sgpr_private_segment_size 0
		.amdhsa_wavefront_size32 1
		.amdhsa_uses_dynamic_stack 0
		.amdhsa_enable_private_segment 0
		.amdhsa_system_sgpr_workgroup_id_x 1
		.amdhsa_system_sgpr_workgroup_id_y 0
		.amdhsa_system_sgpr_workgroup_id_z 0
		.amdhsa_system_sgpr_workgroup_info 0
		.amdhsa_system_vgpr_workitem_id 0
		.amdhsa_next_free_vgpr 121
		.amdhsa_next_free_sgpr 39
		.amdhsa_reserve_vcc 1
		.amdhsa_float_round_mode_32 0
		.amdhsa_float_round_mode_16_64 0
		.amdhsa_float_denorm_mode_32 3
		.amdhsa_float_denorm_mode_16_64 3
		.amdhsa_fp16_overflow 0
		.amdhsa_workgroup_processor_mode 1
		.amdhsa_memory_ordered 1
		.amdhsa_forward_progress 0
		.amdhsa_round_robin_scheduling 0
		.amdhsa_exception_fp_ieee_invalid_op 0
		.amdhsa_exception_fp_denorm_src 0
		.amdhsa_exception_fp_ieee_div_zero 0
		.amdhsa_exception_fp_ieee_overflow 0
		.amdhsa_exception_fp_ieee_underflow 0
		.amdhsa_exception_fp_ieee_inexact 0
		.amdhsa_exception_int_div_zero 0
	.end_amdhsa_kernel
	.text
.Lfunc_end0:
	.size	fft_rtc_fwd_len55_factors_5_11_wgs_253_tpt_11_half_op_CI_CI_unitstride_sbrr_dirReg, .Lfunc_end0-fft_rtc_fwd_len55_factors_5_11_wgs_253_tpt_11_half_op_CI_CI_unitstride_sbrr_dirReg
                                        ; -- End function
	.section	.AMDGPU.csdata,"",@progbits
; Kernel info:
; codeLenInByte = 4924
; NumSgprs: 41
; NumVgprs: 121
; ScratchSize: 0
; MemoryBound: 0
; FloatMode: 240
; IeeeMode: 1
; LDSByteSize: 0 bytes/workgroup (compile time only)
; SGPRBlocks: 5
; VGPRBlocks: 15
; NumSGPRsForWavesPerEU: 41
; NumVGPRsForWavesPerEU: 121
; Occupancy: 10
; WaveLimiterHint : 1
; COMPUTE_PGM_RSRC2:SCRATCH_EN: 0
; COMPUTE_PGM_RSRC2:USER_SGPR: 2
; COMPUTE_PGM_RSRC2:TRAP_HANDLER: 0
; COMPUTE_PGM_RSRC2:TGID_X_EN: 1
; COMPUTE_PGM_RSRC2:TGID_Y_EN: 0
; COMPUTE_PGM_RSRC2:TGID_Z_EN: 0
; COMPUTE_PGM_RSRC2:TIDIG_COMP_CNT: 0
	.text
	.p2alignl 7, 3214868480
	.fill 96, 4, 3214868480
	.type	__hip_cuid_e13fb7b2d1213f90,@object ; @__hip_cuid_e13fb7b2d1213f90
	.section	.bss,"aw",@nobits
	.globl	__hip_cuid_e13fb7b2d1213f90
__hip_cuid_e13fb7b2d1213f90:
	.byte	0                               ; 0x0
	.size	__hip_cuid_e13fb7b2d1213f90, 1

	.ident	"AMD clang version 19.0.0git (https://github.com/RadeonOpenCompute/llvm-project roc-6.4.0 25133 c7fe45cf4b819c5991fe208aaa96edf142730f1d)"
	.section	".note.GNU-stack","",@progbits
	.addrsig
	.addrsig_sym __hip_cuid_e13fb7b2d1213f90
	.amdgpu_metadata
---
amdhsa.kernels:
  - .args:
      - .actual_access:  read_only
        .address_space:  global
        .offset:         0
        .size:           8
        .value_kind:     global_buffer
      - .offset:         8
        .size:           8
        .value_kind:     by_value
      - .actual_access:  read_only
        .address_space:  global
        .offset:         16
        .size:           8
        .value_kind:     global_buffer
      - .actual_access:  read_only
        .address_space:  global
        .offset:         24
        .size:           8
        .value_kind:     global_buffer
      - .actual_access:  read_only
        .address_space:  global
        .offset:         32
        .size:           8
        .value_kind:     global_buffer
      - .offset:         40
        .size:           8
        .value_kind:     by_value
      - .actual_access:  read_only
        .address_space:  global
        .offset:         48
        .size:           8
        .value_kind:     global_buffer
      - .actual_access:  read_only
        .address_space:  global
        .offset:         56
        .size:           8
        .value_kind:     global_buffer
      - .offset:         64
        .size:           4
        .value_kind:     by_value
      - .actual_access:  read_only
        .address_space:  global
        .offset:         72
        .size:           8
        .value_kind:     global_buffer
      - .actual_access:  read_only
        .address_space:  global
        .offset:         80
        .size:           8
        .value_kind:     global_buffer
      - .actual_access:  read_only
        .address_space:  global
        .offset:         88
        .size:           8
        .value_kind:     global_buffer
      - .actual_access:  write_only
        .address_space:  global
        .offset:         96
        .size:           8
        .value_kind:     global_buffer
    .group_segment_fixed_size: 0
    .kernarg_segment_align: 8
    .kernarg_segment_size: 104
    .language:       OpenCL C
    .language_version:
      - 2
      - 0
    .max_flat_workgroup_size: 253
    .name:           fft_rtc_fwd_len55_factors_5_11_wgs_253_tpt_11_half_op_CI_CI_unitstride_sbrr_dirReg
    .private_segment_fixed_size: 0
    .sgpr_count:     41
    .sgpr_spill_count: 0
    .symbol:         fft_rtc_fwd_len55_factors_5_11_wgs_253_tpt_11_half_op_CI_CI_unitstride_sbrr_dirReg.kd
    .uniform_work_group_size: 1
    .uses_dynamic_stack: false
    .vgpr_count:     121
    .vgpr_spill_count: 0
    .wavefront_size: 32
    .workgroup_processor_mode: 1
amdhsa.target:   amdgcn-amd-amdhsa--gfx1201
amdhsa.version:
  - 1
  - 2
...

	.end_amdgpu_metadata
